;; amdgpu-corpus repo=ROCm/rocFFT kind=compiled arch=gfx1100 opt=O3
	.text
	.amdgcn_target "amdgcn-amd-amdhsa--gfx1100"
	.amdhsa_code_object_version 6
	.protected	fft_rtc_fwd_len2592_factors_6_6_6_6_2_wgs_216_tpt_216_halfLds_dp_ip_CI_unitstride_sbrr_dirReg ; -- Begin function fft_rtc_fwd_len2592_factors_6_6_6_6_2_wgs_216_tpt_216_halfLds_dp_ip_CI_unitstride_sbrr_dirReg
	.globl	fft_rtc_fwd_len2592_factors_6_6_6_6_2_wgs_216_tpt_216_halfLds_dp_ip_CI_unitstride_sbrr_dirReg
	.p2align	8
	.type	fft_rtc_fwd_len2592_factors_6_6_6_6_2_wgs_216_tpt_216_halfLds_dp_ip_CI_unitstride_sbrr_dirReg,@function
fft_rtc_fwd_len2592_factors_6_6_6_6_2_wgs_216_tpt_216_halfLds_dp_ip_CI_unitstride_sbrr_dirReg: ; @fft_rtc_fwd_len2592_factors_6_6_6_6_2_wgs_216_tpt_216_halfLds_dp_ip_CI_unitstride_sbrr_dirReg
; %bb.0:
	s_clause 0x2
	s_load_b128 s[4:7], s[0:1], 0x0
	s_load_b64 s[8:9], s[0:1], 0x50
	s_load_b64 s[10:11], s[0:1], 0x18
	v_mul_u32_u24_e32 v1, 0x130, v0
	v_mov_b32_e32 v3, 0
	v_mov_b32_e32 v4, 0
	s_delay_alu instid0(VALU_DEP_3) | instskip(SKIP_1) | instid1(VALU_DEP_1)
	v_lshrrev_b32_e32 v2, 16, v1
	v_mov_b32_e32 v1, 0
	v_dual_mov_b32 v6, v1 :: v_dual_add_nc_u32 v5, s15, v2
	s_waitcnt lgkmcnt(0)
	v_cmp_lt_u64_e64 s2, s[6:7], 2
	s_delay_alu instid0(VALU_DEP_1)
	s_and_b32 vcc_lo, exec_lo, s2
	s_cbranch_vccnz .LBB0_8
; %bb.1:
	s_load_b64 s[2:3], s[0:1], 0x10
	v_mov_b32_e32 v3, 0
	s_add_u32 s12, s10, 8
	v_mov_b32_e32 v4, 0
	s_addc_u32 s13, s11, 0
	s_mov_b64 s[16:17], 1
	s_waitcnt lgkmcnt(0)
	s_add_u32 s14, s2, 8
	s_addc_u32 s15, s3, 0
.LBB0_2:                                ; =>This Inner Loop Header: Depth=1
	s_load_b64 s[18:19], s[14:15], 0x0
                                        ; implicit-def: $vgpr7_vgpr8
	s_mov_b32 s2, exec_lo
	s_waitcnt lgkmcnt(0)
	v_or_b32_e32 v2, s19, v6
	s_delay_alu instid0(VALU_DEP_1)
	v_cmpx_ne_u64_e32 0, v[1:2]
	s_xor_b32 s3, exec_lo, s2
	s_cbranch_execz .LBB0_4
; %bb.3:                                ;   in Loop: Header=BB0_2 Depth=1
	v_cvt_f32_u32_e32 v2, s18
	v_cvt_f32_u32_e32 v7, s19
	s_sub_u32 s2, 0, s18
	s_subb_u32 s20, 0, s19
	s_delay_alu instid0(VALU_DEP_1) | instskip(NEXT) | instid1(VALU_DEP_1)
	v_fmac_f32_e32 v2, 0x4f800000, v7
	v_rcp_f32_e32 v2, v2
	s_waitcnt_depctr 0xfff
	v_mul_f32_e32 v2, 0x5f7ffffc, v2
	s_delay_alu instid0(VALU_DEP_1) | instskip(NEXT) | instid1(VALU_DEP_1)
	v_mul_f32_e32 v7, 0x2f800000, v2
	v_trunc_f32_e32 v7, v7
	s_delay_alu instid0(VALU_DEP_1) | instskip(SKIP_1) | instid1(VALU_DEP_2)
	v_fmac_f32_e32 v2, 0xcf800000, v7
	v_cvt_u32_f32_e32 v7, v7
	v_cvt_u32_f32_e32 v2, v2
	s_delay_alu instid0(VALU_DEP_2) | instskip(NEXT) | instid1(VALU_DEP_2)
	v_mul_lo_u32 v8, s2, v7
	v_mul_hi_u32 v9, s2, v2
	v_mul_lo_u32 v10, s20, v2
	s_delay_alu instid0(VALU_DEP_2) | instskip(SKIP_1) | instid1(VALU_DEP_2)
	v_add_nc_u32_e32 v8, v9, v8
	v_mul_lo_u32 v9, s2, v2
	v_add_nc_u32_e32 v8, v8, v10
	s_delay_alu instid0(VALU_DEP_2) | instskip(NEXT) | instid1(VALU_DEP_2)
	v_mul_hi_u32 v10, v2, v9
	v_mul_lo_u32 v11, v2, v8
	v_mul_hi_u32 v12, v2, v8
	v_mul_hi_u32 v13, v7, v9
	v_mul_lo_u32 v9, v7, v9
	v_mul_hi_u32 v14, v7, v8
	v_mul_lo_u32 v8, v7, v8
	v_add_co_u32 v10, vcc_lo, v10, v11
	v_add_co_ci_u32_e32 v11, vcc_lo, 0, v12, vcc_lo
	s_delay_alu instid0(VALU_DEP_2) | instskip(NEXT) | instid1(VALU_DEP_2)
	v_add_co_u32 v9, vcc_lo, v10, v9
	v_add_co_ci_u32_e32 v9, vcc_lo, v11, v13, vcc_lo
	v_add_co_ci_u32_e32 v10, vcc_lo, 0, v14, vcc_lo
	s_delay_alu instid0(VALU_DEP_2) | instskip(NEXT) | instid1(VALU_DEP_2)
	v_add_co_u32 v8, vcc_lo, v9, v8
	v_add_co_ci_u32_e32 v9, vcc_lo, 0, v10, vcc_lo
	s_delay_alu instid0(VALU_DEP_2) | instskip(NEXT) | instid1(VALU_DEP_2)
	v_add_co_u32 v2, vcc_lo, v2, v8
	v_add_co_ci_u32_e32 v7, vcc_lo, v7, v9, vcc_lo
	s_delay_alu instid0(VALU_DEP_2) | instskip(SKIP_1) | instid1(VALU_DEP_3)
	v_mul_hi_u32 v8, s2, v2
	v_mul_lo_u32 v10, s20, v2
	v_mul_lo_u32 v9, s2, v7
	s_delay_alu instid0(VALU_DEP_1) | instskip(SKIP_1) | instid1(VALU_DEP_2)
	v_add_nc_u32_e32 v8, v8, v9
	v_mul_lo_u32 v9, s2, v2
	v_add_nc_u32_e32 v8, v8, v10
	s_delay_alu instid0(VALU_DEP_2) | instskip(NEXT) | instid1(VALU_DEP_2)
	v_mul_hi_u32 v10, v2, v9
	v_mul_lo_u32 v11, v2, v8
	v_mul_hi_u32 v12, v2, v8
	v_mul_hi_u32 v13, v7, v9
	v_mul_lo_u32 v9, v7, v9
	v_mul_hi_u32 v14, v7, v8
	v_mul_lo_u32 v8, v7, v8
	v_add_co_u32 v10, vcc_lo, v10, v11
	v_add_co_ci_u32_e32 v11, vcc_lo, 0, v12, vcc_lo
	s_delay_alu instid0(VALU_DEP_2) | instskip(NEXT) | instid1(VALU_DEP_2)
	v_add_co_u32 v9, vcc_lo, v10, v9
	v_add_co_ci_u32_e32 v9, vcc_lo, v11, v13, vcc_lo
	v_add_co_ci_u32_e32 v10, vcc_lo, 0, v14, vcc_lo
	s_delay_alu instid0(VALU_DEP_2) | instskip(NEXT) | instid1(VALU_DEP_2)
	v_add_co_u32 v8, vcc_lo, v9, v8
	v_add_co_ci_u32_e32 v9, vcc_lo, 0, v10, vcc_lo
	s_delay_alu instid0(VALU_DEP_2) | instskip(NEXT) | instid1(VALU_DEP_2)
	v_add_co_u32 v2, vcc_lo, v2, v8
	v_add_co_ci_u32_e32 v13, vcc_lo, v7, v9, vcc_lo
	s_delay_alu instid0(VALU_DEP_2) | instskip(SKIP_1) | instid1(VALU_DEP_3)
	v_mul_hi_u32 v14, v5, v2
	v_mad_u64_u32 v[9:10], null, v6, v2, 0
	v_mad_u64_u32 v[7:8], null, v5, v13, 0
	;; [unrolled: 1-line block ×3, first 2 shown]
	s_delay_alu instid0(VALU_DEP_2) | instskip(NEXT) | instid1(VALU_DEP_3)
	v_add_co_u32 v2, vcc_lo, v14, v7
	v_add_co_ci_u32_e32 v7, vcc_lo, 0, v8, vcc_lo
	s_delay_alu instid0(VALU_DEP_2) | instskip(NEXT) | instid1(VALU_DEP_2)
	v_add_co_u32 v2, vcc_lo, v2, v9
	v_add_co_ci_u32_e32 v2, vcc_lo, v7, v10, vcc_lo
	v_add_co_ci_u32_e32 v7, vcc_lo, 0, v12, vcc_lo
	s_delay_alu instid0(VALU_DEP_2) | instskip(NEXT) | instid1(VALU_DEP_2)
	v_add_co_u32 v2, vcc_lo, v2, v11
	v_add_co_ci_u32_e32 v9, vcc_lo, 0, v7, vcc_lo
	s_delay_alu instid0(VALU_DEP_2) | instskip(SKIP_1) | instid1(VALU_DEP_3)
	v_mul_lo_u32 v10, s19, v2
	v_mad_u64_u32 v[7:8], null, s18, v2, 0
	v_mul_lo_u32 v11, s18, v9
	s_delay_alu instid0(VALU_DEP_2) | instskip(NEXT) | instid1(VALU_DEP_2)
	v_sub_co_u32 v7, vcc_lo, v5, v7
	v_add3_u32 v8, v8, v11, v10
	s_delay_alu instid0(VALU_DEP_1) | instskip(NEXT) | instid1(VALU_DEP_1)
	v_sub_nc_u32_e32 v10, v6, v8
	v_subrev_co_ci_u32_e64 v10, s2, s19, v10, vcc_lo
	v_add_co_u32 v11, s2, v2, 2
	s_delay_alu instid0(VALU_DEP_1) | instskip(SKIP_3) | instid1(VALU_DEP_3)
	v_add_co_ci_u32_e64 v12, s2, 0, v9, s2
	v_sub_co_u32 v13, s2, v7, s18
	v_sub_co_ci_u32_e32 v8, vcc_lo, v6, v8, vcc_lo
	v_subrev_co_ci_u32_e64 v10, s2, 0, v10, s2
	v_cmp_le_u32_e32 vcc_lo, s18, v13
	s_delay_alu instid0(VALU_DEP_3) | instskip(SKIP_1) | instid1(VALU_DEP_4)
	v_cmp_eq_u32_e64 s2, s19, v8
	v_cndmask_b32_e64 v13, 0, -1, vcc_lo
	v_cmp_le_u32_e32 vcc_lo, s19, v10
	v_cndmask_b32_e64 v14, 0, -1, vcc_lo
	v_cmp_le_u32_e32 vcc_lo, s18, v7
	;; [unrolled: 2-line block ×3, first 2 shown]
	v_cndmask_b32_e64 v15, 0, -1, vcc_lo
	v_cmp_eq_u32_e32 vcc_lo, s19, v10
	s_delay_alu instid0(VALU_DEP_2) | instskip(SKIP_3) | instid1(VALU_DEP_3)
	v_cndmask_b32_e64 v7, v15, v7, s2
	v_cndmask_b32_e32 v10, v14, v13, vcc_lo
	v_add_co_u32 v13, vcc_lo, v2, 1
	v_add_co_ci_u32_e32 v14, vcc_lo, 0, v9, vcc_lo
	v_cmp_ne_u32_e32 vcc_lo, 0, v10
	s_delay_alu instid0(VALU_DEP_2) | instskip(NEXT) | instid1(VALU_DEP_4)
	v_cndmask_b32_e32 v8, v14, v12, vcc_lo
	v_cndmask_b32_e32 v10, v13, v11, vcc_lo
	v_cmp_ne_u32_e32 vcc_lo, 0, v7
	s_delay_alu instid0(VALU_DEP_2)
	v_dual_cndmask_b32 v7, v2, v10 :: v_dual_cndmask_b32 v8, v9, v8
.LBB0_4:                                ;   in Loop: Header=BB0_2 Depth=1
	s_and_not1_saveexec_b32 s2, s3
	s_cbranch_execz .LBB0_6
; %bb.5:                                ;   in Loop: Header=BB0_2 Depth=1
	v_cvt_f32_u32_e32 v2, s18
	s_sub_i32 s3, 0, s18
	s_delay_alu instid0(VALU_DEP_1) | instskip(SKIP_2) | instid1(VALU_DEP_1)
	v_rcp_iflag_f32_e32 v2, v2
	s_waitcnt_depctr 0xfff
	v_mul_f32_e32 v2, 0x4f7ffffe, v2
	v_cvt_u32_f32_e32 v2, v2
	s_delay_alu instid0(VALU_DEP_1) | instskip(NEXT) | instid1(VALU_DEP_1)
	v_mul_lo_u32 v7, s3, v2
	v_mul_hi_u32 v7, v2, v7
	s_delay_alu instid0(VALU_DEP_1) | instskip(NEXT) | instid1(VALU_DEP_1)
	v_add_nc_u32_e32 v2, v2, v7
	v_mul_hi_u32 v2, v5, v2
	s_delay_alu instid0(VALU_DEP_1) | instskip(SKIP_1) | instid1(VALU_DEP_2)
	v_mul_lo_u32 v7, v2, s18
	v_add_nc_u32_e32 v8, 1, v2
	v_sub_nc_u32_e32 v7, v5, v7
	s_delay_alu instid0(VALU_DEP_1) | instskip(SKIP_1) | instid1(VALU_DEP_2)
	v_subrev_nc_u32_e32 v9, s18, v7
	v_cmp_le_u32_e32 vcc_lo, s18, v7
	v_dual_cndmask_b32 v7, v7, v9 :: v_dual_cndmask_b32 v2, v2, v8
	s_delay_alu instid0(VALU_DEP_1) | instskip(NEXT) | instid1(VALU_DEP_2)
	v_cmp_le_u32_e32 vcc_lo, s18, v7
	v_add_nc_u32_e32 v8, 1, v2
	s_delay_alu instid0(VALU_DEP_1)
	v_dual_cndmask_b32 v7, v2, v8 :: v_dual_mov_b32 v8, v1
.LBB0_6:                                ;   in Loop: Header=BB0_2 Depth=1
	s_or_b32 exec_lo, exec_lo, s2
	s_load_b64 s[2:3], s[12:13], 0x0
	s_delay_alu instid0(VALU_DEP_1) | instskip(NEXT) | instid1(VALU_DEP_2)
	v_mul_lo_u32 v2, v8, s18
	v_mul_lo_u32 v11, v7, s19
	v_mad_u64_u32 v[9:10], null, v7, s18, 0
	s_add_u32 s16, s16, 1
	s_addc_u32 s17, s17, 0
	s_add_u32 s12, s12, 8
	s_addc_u32 s13, s13, 0
	;; [unrolled: 2-line block ×3, first 2 shown]
	s_delay_alu instid0(VALU_DEP_1) | instskip(SKIP_1) | instid1(VALU_DEP_2)
	v_add3_u32 v2, v10, v11, v2
	v_sub_co_u32 v9, vcc_lo, v5, v9
	v_sub_co_ci_u32_e32 v2, vcc_lo, v6, v2, vcc_lo
	s_waitcnt lgkmcnt(0)
	s_delay_alu instid0(VALU_DEP_2) | instskip(NEXT) | instid1(VALU_DEP_2)
	v_mul_lo_u32 v10, s3, v9
	v_mul_lo_u32 v2, s2, v2
	v_mad_u64_u32 v[5:6], null, s2, v9, v[3:4]
	v_cmp_ge_u64_e64 s2, s[16:17], s[6:7]
	s_delay_alu instid0(VALU_DEP_1) | instskip(NEXT) | instid1(VALU_DEP_2)
	s_and_b32 vcc_lo, exec_lo, s2
	v_add3_u32 v4, v10, v6, v2
	s_delay_alu instid0(VALU_DEP_3)
	v_mov_b32_e32 v3, v5
	s_cbranch_vccnz .LBB0_9
; %bb.7:                                ;   in Loop: Header=BB0_2 Depth=1
	v_dual_mov_b32 v5, v7 :: v_dual_mov_b32 v6, v8
	s_branch .LBB0_2
.LBB0_8:
	v_dual_mov_b32 v8, v6 :: v_dual_mov_b32 v7, v5
.LBB0_9:
	s_lshl_b64 s[2:3], s[6:7], 3
                                        ; implicit-def: $vgpr14_vgpr15
                                        ; implicit-def: $vgpr10_vgpr11
                                        ; implicit-def: $vgpr38_vgpr39
                                        ; implicit-def: $vgpr34_vgpr35
                                        ; implicit-def: $vgpr42_vgpr43
                                        ; implicit-def: $vgpr26_vgpr27
                                        ; implicit-def: $vgpr46_vgpr47
                                        ; implicit-def: $vgpr18_vgpr19
                                        ; implicit-def: $vgpr22_vgpr23
                                        ; implicit-def: $vgpr30_vgpr31
	s_delay_alu instid0(SALU_CYCLE_1)
	s_add_u32 s2, s10, s2
	s_addc_u32 s3, s11, s3
	s_load_b64 s[2:3], s[2:3], 0x0
	s_load_b64 s[0:1], s[0:1], 0x20
	s_waitcnt lgkmcnt(0)
	v_mul_lo_u32 v5, s2, v8
	v_mul_lo_u32 v6, s3, v7
	v_mad_u64_u32 v[1:2], null, s2, v7, v[3:4]
	v_mul_hi_u32 v3, 0x12f684c, v0
	v_cmp_gt_u64_e32 vcc_lo, s[0:1], v[7:8]
	s_delay_alu instid0(VALU_DEP_3) | instskip(NEXT) | instid1(VALU_DEP_3)
	v_add3_u32 v2, v6, v2, v5
                                        ; implicit-def: $vgpr6_vgpr7
	v_mul_u32_u24_e32 v3, 0xd8, v3
	s_delay_alu instid0(VALU_DEP_2) | instskip(NEXT) | instid1(VALU_DEP_2)
	v_lshlrev_b64 v[48:49], 4, v[1:2]
	v_sub_nc_u32_e32 v50, v0, v3
                                        ; implicit-def: $vgpr2_vgpr3
	s_and_saveexec_b32 s1, vcc_lo
	s_cbranch_execz .LBB0_11
; %bb.10:
	v_mov_b32_e32 v51, 0
	s_delay_alu instid0(VALU_DEP_3) | instskip(NEXT) | instid1(VALU_DEP_1)
	v_add_co_u32 v2, s0, s8, v48
	v_add_co_ci_u32_e64 v3, s0, s9, v49, s0
	s_delay_alu instid0(VALU_DEP_3) | instskip(NEXT) | instid1(VALU_DEP_1)
	v_lshlrev_b64 v[0:1], 4, v[50:51]
	v_add_co_u32 v8, s0, v2, v0
	s_delay_alu instid0(VALU_DEP_1) | instskip(NEXT) | instid1(VALU_DEP_2)
	v_add_co_ci_u32_e64 v9, s0, v3, v1, s0
	v_add_co_u32 v0, s0, 0x1000, v8
	s_delay_alu instid0(VALU_DEP_1) | instskip(SKIP_1) | instid1(VALU_DEP_1)
	v_add_co_ci_u32_e64 v1, s0, 0, v9, s0
	v_add_co_u32 v2, s0, 0x3000, v8
	v_add_co_ci_u32_e64 v3, s0, 0, v9, s0
	s_clause 0x1
	global_load_b128 v[20:23], v[0:1], off offset:2816
	global_load_b128 v[16:19], v[2:3], off offset:1536
	v_add_co_u32 v0, s0, 0x6000, v8
	s_delay_alu instid0(VALU_DEP_1) | instskip(SKIP_1) | instid1(VALU_DEP_1)
	v_add_co_ci_u32_e64 v1, s0, 0, v9, s0
	v_add_co_u32 v4, s0, 0x8000, v8
	v_add_co_ci_u32_e64 v5, s0, 0, v9, s0
	v_add_co_u32 v10, s0, 0x5000, v8
	s_delay_alu instid0(VALU_DEP_1) | instskip(SKIP_1) | instid1(VALU_DEP_1)
	v_add_co_ci_u32_e64 v11, s0, 0, v9, s0
	v_add_co_u32 v12, s0, 0x2000, v8
	v_add_co_ci_u32_e64 v13, s0, 0, v9, s0
	;; [unrolled: 5-line block ×3, first 2 shown]
	v_add_co_u32 v53, s0, 0x9000, v8
	s_clause 0x3
	global_load_b128 v[0:3], v[0:1], off offset:3072
	global_load_b128 v[4:7], v[4:5], off offset:1792
	global_load_b128 v[28:31], v[8:9], off
	global_load_b128 v[24:27], v[8:9], off offset:3456
	v_add_co_ci_u32_e64 v54, s0, 0, v9, s0
	s_clause 0x5
	global_load_b128 v[40:43], v[12:13], off offset:2176
	global_load_b128 v[32:35], v[14:15], off offset:896
	;; [unrolled: 1-line block ×6, first 2 shown]
.LBB0_11:
	s_or_b32 exec_lo, exec_lo, s1
	s_waitcnt vmcnt(3)
	v_add_f64 v[51:52], v[4:5], v[44:45]
	s_waitcnt vmcnt(0)
	v_add_f64 v[53:54], v[12:13], v[36:37]
	v_add_f64 v[55:56], v[6:7], v[46:47]
	v_add_f64 v[57:58], v[14:15], v[38:39]
	v_add_f64 v[59:60], v[46:47], -v[6:7]
	v_add_f64 v[61:62], v[38:39], -v[14:15]
	;; [unrolled: 1-line block ×4, first 2 shown]
	s_mov_b32 s2, 0xe8584caa
	s_mov_b32 s3, 0x3febb67a
	;; [unrolled: 1-line block ×4, first 2 shown]
	v_add_f64 v[67:68], v[0:1], v[16:17]
	v_add_f64 v[75:76], v[10:11], v[34:35]
	;; [unrolled: 1-line block ×3, first 2 shown]
	v_add_f64 v[81:82], v[18:19], -v[2:3]
	v_add_f64 v[36:37], v[36:37], v[40:41]
	v_add_f64 v[16:17], v[16:17], -v[0:1]
	v_add_f64 v[38:39], v[38:39], v[42:43]
	v_and_b32_e32 v89, 0xff, v50
	v_fma_f64 v[51:52], v[51:52], -0.5, v[20:21]
	v_fma_f64 v[53:54], v[53:54], -0.5, v[40:41]
	;; [unrolled: 1-line block ×4, first 2 shown]
	v_add_f64 v[20:21], v[44:45], v[20:21]
	v_add_f64 v[22:23], v[46:47], v[22:23]
	;; [unrolled: 1-line block ×3, first 2 shown]
	v_add_f64 v[46:47], v[34:35], -v[10:11]
	v_add_f64 v[34:35], v[34:35], v[26:27]
	v_fma_f64 v[28:29], v[67:68], -0.5, v[28:29]
	v_fma_f64 v[26:27], v[75:76], -0.5, v[26:27]
	v_add_f64 v[12:13], v[12:13], v[36:37]
	v_add_f64 v[38:39], v[14:15], v[38:39]
	v_fma_f64 v[69:70], v[59:60], s[2:3], v[51:52]
	v_fma_f64 v[51:52], v[59:60], s[0:1], v[51:52]
	v_add_f64 v[59:60], v[8:9], v[32:33]
	v_fma_f64 v[71:72], v[61:62], s[2:3], v[53:54]
	v_fma_f64 v[53:54], v[61:62], s[0:1], v[53:54]
	;; [unrolled: 3-line block ×3, first 2 shown]
	v_fma_f64 v[40:41], v[63:64], s[0:1], v[55:56]
	v_fma_f64 v[57:58], v[65:66], s[0:1], v[57:58]
	v_add_f64 v[18:19], v[18:19], v[30:31]
	v_add_f64 v[32:33], v[32:33], -v[8:9]
	v_add_f64 v[4:5], v[4:5], v[20:21]
	v_add_f64 v[20:21], v[8:9], v[44:45]
	v_fma_f64 v[36:37], v[81:82], s[2:3], v[28:29]
	v_add_f64 v[22:23], v[6:7], v[22:23]
	v_fma_f64 v[28:29], v[81:82], s[0:1], v[28:29]
	v_mul_f64 v[55:56], v[69:70], 0.5
	v_mul_f64 v[63:64], v[51:52], -0.5
	v_fma_f64 v[24:25], v[59:60], -0.5, v[24:25]
	v_mul_f64 v[59:60], v[71:72], 0.5
	v_mul_f64 v[65:66], v[53:54], -0.5
	v_fma_f64 v[30:31], v[61:62], -0.5, v[30:31]
	v_mul_f64 v[42:43], v[69:70], s[0:1]
	v_mul_f64 v[61:62], v[73:74], -0.5
	v_mul_f64 v[67:68], v[71:72], s[0:1]
	v_mul_f64 v[69:70], v[77:78], -0.5
	v_add_f64 v[71:72], v[0:1], v[79:80]
	v_mul_lo_u16 v1, 0xab, v89
	v_add_nc_u32_e32 v0, 0xd8, v50
	s_delay_alu instid0(VALU_DEP_2) | instskip(NEXT) | instid1(VALU_DEP_2)
	v_lshrrev_b16 v1, 10, v1
	v_and_b32_e32 v90, 0xffff, v0
	v_fma_f64 v[44:45], v[40:41], s[2:3], v[55:56]
	v_fma_f64 v[55:56], v[73:74], s[2:3], v[63:64]
	;; [unrolled: 1-line block ×6, first 2 shown]
	v_add_f64 v[65:66], v[2:3], v[18:19]
	v_fma_f64 v[75:76], v[16:17], s[0:1], v[30:31]
	v_fma_f64 v[79:80], v[40:41], 0.5, v[42:43]
	v_add_f64 v[73:74], v[10:11], v[34:35]
	v_fma_f64 v[77:78], v[16:17], s[2:3], v[30:31]
	v_fma_f64 v[51:52], v[51:52], s[0:1], v[61:62]
	;; [unrolled: 1-line block ×3, first 2 shown]
	v_fma_f64 v[67:68], v[57:58], 0.5, v[67:68]
	v_fma_f64 v[26:27], v[32:33], s[2:3], v[26:27]
	v_fma_f64 v[69:70], v[53:54], s[0:1], v[69:70]
	v_mul_u32_u24_e32 v34, 6, v50
	v_add_f64 v[2:3], v[4:5], v[71:72]
	v_add_f64 v[8:9], v[71:72], -v[4:5]
	v_add_f64 v[10:11], v[12:13], v[20:21]
	v_add_f64 v[16:17], v[20:21], -v[12:13]
	;; [unrolled: 2-line block ×5, first 2 shown]
	v_lshl_add_u32 v46, v34, 3, 0
	v_add_f64 v[34:35], v[22:23], v[65:66]
	v_add_f64 v[36:37], v[75:76], v[79:80]
	v_add_f64 v[40:41], v[65:66], -v[22:23]
	v_add_f64 v[42:43], v[38:39], v[73:74]
	v_add_f64 v[53:54], v[73:74], -v[38:39]
	;; [unrolled: 2-line block ×3, first 2 shown]
	v_add_f64 v[57:58], v[77:78], -v[51:52]
	v_add_f64 v[44:45], v[61:62], v[67:68]
	v_add_f64 v[14:15], v[24:25], v[59:60]
	;; [unrolled: 1-line block ×3, first 2 shown]
	v_add_f64 v[32:33], v[24:25], -v[59:60]
	v_add_f64 v[59:60], v[61:62], -v[67:68]
	v_add_f64 v[61:62], v[26:27], -v[69:70]
	v_mul_lo_u16 v24, v1, 6
	v_mul_u32_u24_e32 v22, 0xaaab, v90
	ds_store_b128 v46, v[2:5]
	ds_store_b128 v46, v[6:9] offset:16
	ds_store_b128 v46, v[18:21] offset:32
	;; [unrolled: 1-line block ×5, first 2 shown]
	v_sub_nc_u16 v25, v50, v24
	v_lshrrev_b32_e32 v92, 18, v22
	v_mad_i32_i24 v24, 0xffffffd8, v50, v46
	s_waitcnt lgkmcnt(0)
	s_barrier
	v_and_b32_e32 v91, 0xff, v25
	buffer_gl0_inv
	v_add_nc_u32_e32 v28, 0xd00, v24
	v_add_nc_u32_e32 v29, 0x1a00, v24
	;; [unrolled: 1-line block ×3, first 2 shown]
	v_mul_u32_u24_e32 v22, 5, v91
	v_add_nc_u32_e32 v26, 0x3600, v24
	v_add_nc_u32_e32 v27, 0x4300, v24
	ds_load_2addr_b64 v[2:5], v24 offset1:216
	ds_load_2addr_b64 v[6:9], v28 offset0:16 offset1:232
	ds_load_2addr_b64 v[10:13], v29 offset0:32 offset1:248
	;; [unrolled: 1-line block ×3, first 2 shown]
	ds_load_2addr_b64 v[18:21], v26 offset1:216
	ds_load_2addr_b64 v[30:33], v27 offset0:16 offset1:232
	s_waitcnt lgkmcnt(0)
	v_lshlrev_b32_e32 v22, 4, v22
	s_barrier
	buffer_gl0_inv
	ds_store_b128 v46, v[34:37]
	ds_store_b128 v46, v[38:41] offset:16
	ds_store_b128 v46, v[55:58] offset:32
	;; [unrolled: 1-line block ×5, first 2 shown]
	s_waitcnt lgkmcnt(0)
	s_barrier
	buffer_gl0_inv
	global_load_b128 v[34:37], v22, s[4:5] offset:32
	v_mul_lo_u16 v23, v92, 6
	s_delay_alu instid0(VALU_DEP_1) | instskip(NEXT) | instid1(VALU_DEP_1)
	v_sub_nc_u16 v23, v0, v23
	v_and_b32_e32 v93, 0xffff, v23
	s_delay_alu instid0(VALU_DEP_1) | instskip(NEXT) | instid1(VALU_DEP_1)
	v_mul_u32_u24_e32 v23, 5, v93
	v_lshlrev_b32_e32 v23, 4, v23
	s_clause 0x8
	global_load_b128 v[38:41], v23, s[4:5] offset:32
	global_load_b128 v[42:45], v22, s[4:5] offset:64
	;; [unrolled: 1-line block ×3, first 2 shown]
	global_load_b128 v[55:58], v22, s[4:5]
	global_load_b128 v[59:62], v23, s[4:5]
	global_load_b128 v[63:66], v22, s[4:5] offset:16
	global_load_b128 v[67:70], v22, s[4:5] offset:48
	;; [unrolled: 1-line block ×4, first 2 shown]
	ds_load_2addr_b64 v[79:82], v25 offset0:16 offset1:232
	s_waitcnt vmcnt(9) lgkmcnt(0)
	v_mul_f64 v[22:23], v[79:80], v[36:37]
	v_mul_f64 v[36:37], v[14:15], v[36:37]
	s_waitcnt vmcnt(8)
	v_mul_f64 v[46:47], v[81:82], v[40:41]
	v_mul_f64 v[40:41], v[16:17], v[40:41]
	s_delay_alu instid0(VALU_DEP_4) | instskip(NEXT) | instid1(VALU_DEP_4)
	v_fma_f64 v[22:23], v[14:15], v[34:35], -v[22:23]
	v_fma_f64 v[79:80], v[79:80], v[34:35], v[36:37]
	ds_load_2addr_b64 v[34:37], v27 offset0:16 offset1:232
	v_fma_f64 v[46:47], v[16:17], v[38:39], -v[46:47]
	ds_load_2addr_b64 v[14:17], v28 offset0:16 offset1:232
	v_fma_f64 v[38:39], v[81:82], v[38:39], v[40:41]
	s_waitcnt vmcnt(7) lgkmcnt(1)
	v_mul_f64 v[83:84], v[34:35], v[44:45]
	v_mul_f64 v[44:45], v[30:31], v[44:45]
	s_waitcnt vmcnt(6)
	v_mul_f64 v[40:41], v[36:37], v[53:54]
	v_mul_f64 v[53:54], v[32:33], v[53:54]
	s_delay_alu instid0(VALU_DEP_4) | instskip(NEXT) | instid1(VALU_DEP_4)
	v_fma_f64 v[81:82], v[30:31], v[42:43], -v[83:84]
	v_fma_f64 v[42:43], v[34:35], v[42:43], v[44:45]
	s_waitcnt vmcnt(5) lgkmcnt(0)
	v_mul_f64 v[44:45], v[14:15], v[57:58]
	v_mul_f64 v[57:58], v[6:7], v[57:58]
	s_waitcnt vmcnt(4)
	v_mul_f64 v[83:84], v[16:17], v[61:62]
	v_fma_f64 v[40:41], v[32:33], v[51:52], -v[40:41]
	v_fma_f64 v[51:52], v[36:37], v[51:52], v[53:54]
	ds_load_2addr_b64 v[30:33], v29 offset0:32 offset1:248
	ds_load_2addr_b64 v[34:37], v26 offset1:216
	v_mul_f64 v[53:54], v[8:9], v[61:62]
	s_waitcnt vmcnt(2)
	v_mul_f64 v[61:62], v[18:19], v[69:70]
	v_fma_f64 v[6:7], v[6:7], v[55:56], -v[44:45]
	v_fma_f64 v[14:15], v[14:15], v[55:56], v[57:58]
	v_mul_f64 v[55:56], v[10:11], v[65:66]
	s_waitcnt lgkmcnt(1)
	v_mul_f64 v[44:45], v[30:31], v[65:66]
	v_fma_f64 v[57:58], v[8:9], v[59:60], -v[83:84]
	s_waitcnt lgkmcnt(0)
	v_mul_f64 v[8:9], v[34:35], v[69:70]
	v_fma_f64 v[16:17], v[16:17], v[59:60], v[53:54]
	s_waitcnt vmcnt(1)
	v_mul_f64 v[53:54], v[32:33], v[73:74]
	s_waitcnt vmcnt(0)
	v_mul_f64 v[59:60], v[36:37], v[77:78]
	v_add_f64 v[65:66], v[79:80], v[42:43]
	v_add_f64 v[69:70], v[22:23], v[81:82]
	v_fma_f64 v[34:35], v[34:35], v[67:68], v[61:62]
	v_mul_f64 v[61:62], v[20:21], v[77:78]
	v_fma_f64 v[30:31], v[30:31], v[63:64], v[55:56]
	v_add_f64 v[55:56], v[46:47], v[40:41]
	v_fma_f64 v[10:11], v[10:11], v[63:64], -v[44:45]
	v_add_f64 v[44:45], v[38:39], v[51:52]
	v_fma_f64 v[18:19], v[18:19], v[67:68], -v[8:9]
	v_mul_f64 v[8:9], v[12:13], v[73:74]
	v_fma_f64 v[12:13], v[12:13], v[71:72], -v[53:54]
	v_fma_f64 v[20:21], v[20:21], v[75:76], -v[59:60]
	v_add_f64 v[53:54], v[79:80], -v[42:43]
	v_add_f64 v[59:60], v[22:23], -v[81:82]
	v_fma_f64 v[63:64], v[65:66], -0.5, v[14:15]
	v_fma_f64 v[65:66], v[69:70], -0.5, v[6:7]
	v_add_f64 v[67:68], v[38:39], -v[51:52]
	v_add_f64 v[69:70], v[46:47], -v[40:41]
	v_fma_f64 v[36:37], v[36:37], v[75:76], v[61:62]
	v_add_f64 v[22:23], v[6:7], v[22:23]
	v_add_f64 v[14:15], v[14:15], v[79:80]
	;; [unrolled: 1-line block ×4, first 2 shown]
	v_fma_f64 v[55:56], v[55:56], -0.5, v[57:58]
	v_fma_f64 v[44:45], v[44:45], -0.5, v[16:17]
	v_add_f64 v[61:62], v[10:11], v[18:19]
	v_fma_f64 v[32:33], v[32:33], v[71:72], v[8:9]
	ds_load_2addr_b64 v[6:9], v24 offset1:216
	v_add_f64 v[71:72], v[12:13], v[20:21]
	v_add_f64 v[16:17], v[16:17], v[38:39]
	s_waitcnt lgkmcnt(0)
	v_fma_f64 v[73:74], v[59:60], s[0:1], v[63:64]
	v_fma_f64 v[75:76], v[53:54], s[0:1], v[65:66]
	;; [unrolled: 1-line block ×4, first 2 shown]
	v_add_f64 v[63:64], v[2:3], v[10:11]
	v_add_f64 v[65:66], v[30:31], -v[34:35]
	v_add_f64 v[10:11], v[10:11], -v[18:19]
	v_add_f64 v[22:23], v[22:23], v[81:82]
	v_add_f64 v[40:41], v[46:47], v[40:41]
	;; [unrolled: 1-line block ×3, first 2 shown]
	s_barrier
	buffer_gl0_inv
	v_add_f64 v[30:31], v[6:7], v[30:31]
	v_fma_f64 v[6:7], v[85:86], -0.5, v[6:7]
	v_fma_f64 v[83:84], v[67:68], s[0:1], v[55:56]
	v_fma_f64 v[55:56], v[67:68], s[2:3], v[55:56]
	;; [unrolled: 1-line block ×4, first 2 shown]
	v_add_f64 v[87:88], v[32:33], v[36:37]
	v_add_f64 v[67:68], v[4:5], v[12:13]
	v_fma_f64 v[2:3], v[61:62], -0.5, v[2:3]
	v_fma_f64 v[4:5], v[71:72], -0.5, v[4:5]
	v_add_f64 v[69:70], v[32:33], -v[36:37]
	v_mul_f64 v[57:58], v[73:74], s[2:3]
	v_mul_f64 v[61:62], v[75:76], -0.5
	v_mul_f64 v[79:80], v[53:54], s[0:1]
	v_add_f64 v[32:33], v[8:9], v[32:33]
	v_mul_f64 v[85:86], v[59:60], -0.5
	v_add_f64 v[12:13], v[12:13], -v[20:21]
	v_add_f64 v[18:19], v[63:64], v[18:19]
	v_add_f64 v[16:17], v[16:17], v[51:52]
	;; [unrolled: 1-line block ×3, first 2 shown]
	v_fma_f64 v[34:35], v[10:11], s[0:1], v[6:7]
	v_mul_f64 v[71:72], v[83:84], -0.5
	v_mul_f64 v[63:64], v[55:56], s[0:1]
	v_mul_f64 v[38:39], v[77:78], s[2:3]
	v_mul_f64 v[81:82], v[44:45], -0.5
	v_fma_f64 v[8:9], v[87:88], -0.5, v[8:9]
	v_add_f64 v[20:21], v[67:68], v[20:21]
	v_fma_f64 v[46:47], v[65:66], s[2:3], v[2:3]
	v_fma_f64 v[2:3], v[65:66], s[0:1], v[2:3]
	;; [unrolled: 1-line block ×3, first 2 shown]
	v_fma_f64 v[53:54], v[53:54], 0.5, v[57:58]
	v_fma_f64 v[57:58], v[59:60], s[2:3], v[61:62]
	v_fma_f64 v[59:60], v[69:70], s[2:3], v[4:5]
	;; [unrolled: 1-line block ×3, first 2 shown]
	v_fma_f64 v[10:11], v[73:74], 0.5, v[79:80]
	v_add_f64 v[32:33], v[32:33], v[36:37]
	v_fma_f64 v[36:37], v[75:76], s[0:1], v[85:86]
	v_fma_f64 v[44:45], v[44:45], s[2:3], v[71:72]
	v_fma_f64 v[38:39], v[55:56], 0.5, v[38:39]
	v_fma_f64 v[51:52], v[83:84], s[0:1], v[81:82]
	v_fma_f64 v[42:43], v[12:13], s[0:1], v[8:9]
	;; [unrolled: 1-line block ×3, first 2 shown]
	v_fma_f64 v[12:13], v[77:78], 0.5, v[63:64]
	v_mul_lo_u16 v55, v89, 57
	v_and_b32_e32 v63, 0xffff, v1
	v_add_f64 v[61:62], v[2:3], v[57:58]
	v_add_f64 v[1:2], v[2:3], -v[57:58]
	s_delay_alu instid0(VALU_DEP_4)
	v_lshrrev_b16 v89, 11, v55
	v_mul_u32_u24_e32 v55, 0xe38f, v90
	v_mul_u32_u24_e32 v71, 0x120, v63
	v_add_f64 v[65:66], v[6:7], v[36:37]
	v_add_f64 v[36:37], v[6:7], -v[36:37]
	v_mul_lo_u16 v56, v89, 36
	v_lshrrev_b32_e32 v90, 21, v55
	v_lshlrev_b32_e32 v7, 3, v93
	s_delay_alu instid0(VALU_DEP_3)
	v_sub_nc_u16 v64, v50, v56
	v_add_f64 v[55:56], v[18:19], v[22:23]
	v_add_f64 v[18:19], v[18:19], -v[22:23]
	v_add_f64 v[22:23], v[20:21], v[40:41]
	v_add_f64 v[20:21], v[20:21], -v[40:41]
	v_add_f64 v[40:41], v[46:47], v[53:54]
	v_and_b32_e32 v94, 0xff, v64
	v_add_f64 v[63:64], v[34:35], v[10:11]
	v_add_f64 v[46:47], v[46:47], -v[53:54]
	v_add_f64 v[34:35], v[34:35], -v[10:11]
	s_delay_alu instid0(VALU_DEP_4)
	v_mul_u32_u24_e32 v6, 5, v94
	v_add_f64 v[57:58], v[4:5], v[44:45]
	v_add_f64 v[3:4], v[4:5], -v[44:45]
	v_add_f64 v[44:45], v[30:31], v[14:15]
	v_add_f64 v[30:31], v[30:31], -v[14:15]
	;; [unrolled: 2-line block ×3, first 2 shown]
	v_add_f64 v[59:60], v[32:33], v[16:17]
	v_add_f64 v[67:68], v[42:43], v[12:13]
	v_add_f64 v[32:33], v[32:33], -v[16:17]
	v_add_f64 v[69:70], v[8:9], v[51:52]
	v_add_f64 v[42:43], v[42:43], -v[12:13]
	v_add_f64 v[51:52], v[8:9], -v[51:52]
	v_mul_lo_u16 v5, v90, 36
	v_lshlrev_b32_e32 v72, 4, v6
	s_delay_alu instid0(VALU_DEP_2) | instskip(SKIP_1) | instid1(VALU_DEP_2)
	v_sub_nc_u16 v0, v0, v5
	v_lshlrev_b32_e32 v5, 3, v91
	v_and_b32_e32 v95, 0xffff, v0
	v_mul_u32_u24_e32 v0, 0x120, v92
	s_delay_alu instid0(VALU_DEP_3) | instskip(NEXT) | instid1(VALU_DEP_3)
	v_add3_u32 v71, 0, v71, v5
	v_mul_u32_u24_e32 v8, 5, v95
	s_delay_alu instid0(VALU_DEP_3)
	v_add3_u32 v73, 0, v0, v7
	ds_store_2addr_b64 v71, v[55:56], v[40:41] offset1:6
	ds_store_2addr_b64 v71, v[61:62], v[18:19] offset0:12 offset1:18
	ds_store_2addr_b64 v71, v[46:47], v[1:2] offset0:24 offset1:30
	ds_store_2addr_b64 v73, v[22:23], v[53:54] offset1:6
	ds_store_2addr_b64 v73, v[57:58], v[20:21] offset0:12 offset1:18
	ds_store_2addr_b64 v73, v[38:39], v[3:4] offset0:24 offset1:30
	v_lshlrev_b32_e32 v74, 4, v8
	s_waitcnt lgkmcnt(0)
	s_barrier
	buffer_gl0_inv
	ds_load_2addr_b64 v[0:3], v24 offset1:216
	ds_load_2addr_b64 v[4:7], v28 offset0:16 offset1:232
	ds_load_2addr_b64 v[8:11], v29 offset0:32 offset1:248
	ds_load_2addr_b64 v[12:15], v25 offset0:16 offset1:232
	ds_load_2addr_b64 v[16:19], v26 offset1:216
	ds_load_2addr_b64 v[20:23], v27 offset0:16 offset1:232
	s_waitcnt lgkmcnt(0)
	s_barrier
	buffer_gl0_inv
	ds_store_2addr_b64 v71, v[44:45], v[63:64] offset1:6
	ds_store_2addr_b64 v71, v[65:66], v[30:31] offset0:12 offset1:18
	ds_store_2addr_b64 v71, v[34:35], v[36:37] offset0:24 offset1:30
	ds_store_2addr_b64 v73, v[59:60], v[67:68] offset1:6
	ds_store_2addr_b64 v73, v[69:70], v[32:33] offset0:12 offset1:18
	ds_store_2addr_b64 v73, v[42:43], v[51:52] offset0:24 offset1:30
	s_waitcnt lgkmcnt(0)
	s_barrier
	buffer_gl0_inv
	s_clause 0x9
	global_load_b128 v[30:33], v72, s[4:5] offset:512
	global_load_b128 v[34:37], v74, s[4:5] offset:512
	global_load_b128 v[38:41], v72, s[4:5] offset:544
	global_load_b128 v[42:45], v74, s[4:5] offset:544
	global_load_b128 v[51:54], v72, s[4:5] offset:480
	global_load_b128 v[55:58], v74, s[4:5] offset:480
	global_load_b128 v[59:62], v72, s[4:5] offset:496
	global_load_b128 v[63:66], v72, s[4:5] offset:528
	global_load_b128 v[67:70], v74, s[4:5] offset:496
	global_load_b128 v[71:74], v74, s[4:5] offset:528
	ds_load_2addr_b64 v[75:78], v25 offset0:16 offset1:232
	ds_load_2addr_b64 v[79:82], v27 offset0:16 offset1:232
	s_waitcnt vmcnt(9) lgkmcnt(1)
	v_mul_f64 v[46:47], v[75:76], v[32:33]
	v_mul_f64 v[32:33], v[12:13], v[32:33]
	s_waitcnt vmcnt(8)
	v_mul_f64 v[83:84], v[77:78], v[36:37]
	v_mul_f64 v[36:37], v[14:15], v[36:37]
	s_delay_alu instid0(VALU_DEP_4) | instskip(NEXT) | instid1(VALU_DEP_4)
	v_fma_f64 v[46:47], v[12:13], v[30:31], -v[46:47]
	v_fma_f64 v[75:76], v[75:76], v[30:31], v[32:33]
	s_waitcnt vmcnt(7) lgkmcnt(0)
	v_mul_f64 v[30:31], v[79:80], v[40:41]
	v_mul_f64 v[32:33], v[20:21], v[40:41]
	v_fma_f64 v[40:41], v[14:15], v[34:35], -v[83:84]
	s_waitcnt vmcnt(6)
	v_mul_f64 v[83:84], v[22:23], v[44:45]
	v_mul_f64 v[44:45], v[81:82], v[44:45]
	ds_load_2addr_b64 v[12:15], v28 offset0:16 offset1:232
	v_fma_f64 v[34:35], v[77:78], v[34:35], v[36:37]
	s_waitcnt vmcnt(5) lgkmcnt(0)
	v_mul_f64 v[36:37], v[12:13], v[53:54]
	v_mul_f64 v[53:54], v[4:5], v[53:54]
	v_fma_f64 v[77:78], v[20:21], v[38:39], -v[30:31]
	v_fma_f64 v[38:39], v[79:80], v[38:39], v[32:33]
	ds_load_2addr_b64 v[30:33], v29 offset0:32 offset1:248
	s_waitcnt vmcnt(4)
	v_mul_f64 v[79:80], v[14:15], v[57:58]
	v_fma_f64 v[81:82], v[81:82], v[42:43], v[83:84]
	v_mul_f64 v[57:58], v[6:7], v[57:58]
	v_fma_f64 v[42:43], v[22:23], v[42:43], -v[44:45]
	ds_load_2addr_b64 v[20:23], v26 offset1:216
	s_waitcnt vmcnt(3) lgkmcnt(1)
	v_mul_f64 v[44:45], v[30:31], v[61:62]
	v_mul_f64 v[61:62], v[8:9], v[61:62]
	v_fma_f64 v[36:37], v[4:5], v[51:52], -v[36:37]
	v_fma_f64 v[12:13], v[12:13], v[51:52], v[53:54]
	s_waitcnt vmcnt(2) lgkmcnt(0)
	v_mul_f64 v[4:5], v[20:21], v[65:66]
	s_waitcnt vmcnt(1)
	v_mul_f64 v[51:52], v[32:33], v[69:70]
	v_mul_f64 v[65:66], v[16:17], v[65:66]
	v_fma_f64 v[53:54], v[6:7], v[55:56], -v[79:80]
	s_waitcnt vmcnt(0)
	v_mul_f64 v[6:7], v[22:23], v[73:74]
	v_fma_f64 v[14:15], v[14:15], v[55:56], v[57:58]
	v_add_f64 v[55:56], v[75:76], v[38:39]
	v_add_f64 v[57:58], v[46:47], v[77:78]
	;; [unrolled: 1-line block ×4, first 2 shown]
	v_fma_f64 v[8:9], v[8:9], v[59:60], -v[44:45]
	v_fma_f64 v[30:31], v[30:31], v[59:60], v[61:62]
	v_mul_f64 v[44:45], v[10:11], v[69:70]
	v_mul_f64 v[59:60], v[18:19], v[73:74]
	v_add_f64 v[61:62], v[40:41], -v[42:43]
	v_fma_f64 v[16:17], v[16:17], v[63:64], -v[4:5]
	v_fma_f64 v[10:11], v[10:11], v[67:68], -v[51:52]
	v_add_f64 v[4:5], v[75:76], -v[38:39]
	v_fma_f64 v[20:21], v[20:21], v[63:64], v[65:66]
	v_add_f64 v[40:41], v[53:54], v[40:41]
	v_fma_f64 v[18:19], v[18:19], v[71:72], -v[6:7]
	v_add_f64 v[6:7], v[46:47], -v[77:78]
	v_fma_f64 v[51:52], v[55:56], -0.5, v[12:13]
	v_fma_f64 v[55:56], v[57:58], -0.5, v[36:37]
	;; [unrolled: 1-line block ×3, first 2 shown]
	v_add_f64 v[57:58], v[34:35], -v[81:82]
	v_fma_f64 v[73:74], v[83:84], -0.5, v[53:54]
	v_add_f64 v[36:37], v[36:37], v[46:47]
	v_add_f64 v[12:13], v[12:13], v[75:76]
	;; [unrolled: 1-line block ×3, first 2 shown]
	v_fma_f64 v[32:33], v[32:33], v[67:68], v[44:45]
	v_fma_f64 v[22:23], v[22:23], v[71:72], v[59:60]
	v_add_f64 v[44:45], v[8:9], v[16:17]
	v_add_f64 v[46:47], v[2:3], v[10:11]
	;; [unrolled: 1-line block ×5, first 2 shown]
	v_add_f64 v[10:11], v[10:11], -v[18:19]
	v_fma_f64 v[59:60], v[6:7], s[0:1], v[51:52]
	v_fma_f64 v[63:64], v[4:5], s[0:1], v[55:56]
	;; [unrolled: 1-line block ×8, first 2 shown]
	ds_load_2addr_b64 v[4:7], v24 offset1:216
	v_add_f64 v[69:70], v[0:1], v[8:9]
	v_add_f64 v[73:74], v[30:31], -v[20:21]
	v_add_f64 v[8:9], v[8:9], -v[16:17]
	v_add_f64 v[36:37], v[36:37], v[77:78]
	v_add_f64 v[12:13], v[12:13], v[38:39]
	;; [unrolled: 1-line block ×3, first 2 shown]
	s_waitcnt lgkmcnt(0)
	s_barrier
	buffer_gl0_inv
	v_add_f64 v[83:84], v[32:33], v[22:23]
	v_fma_f64 v[0:1], v[44:45], -0.5, v[0:1]
	v_add_f64 v[44:45], v[32:33], -v[22:23]
	v_add_f64 v[18:19], v[46:47], v[18:19]
	v_add_f64 v[30:31], v[4:5], v[30:31]
	v_fma_f64 v[4:5], v[79:80], -0.5, v[4:5]
	v_add_f64 v[32:33], v[6:7], v[32:33]
	v_fma_f64 v[2:3], v[65:66], -0.5, v[2:3]
	v_mul_f64 v[53:54], v[59:60], s[2:3]
	v_mul_f64 v[85:86], v[63:64], -0.5
	v_mul_f64 v[65:66], v[67:68], s[2:3]
	v_mul_f64 v[34:35], v[55:56], s[0:1]
	v_mul_f64 v[87:88], v[71:72], -0.5
	v_mul_f64 v[75:76], v[51:52], -0.5
	v_mul_f64 v[79:80], v[57:58], s[0:1]
	v_add_f64 v[16:17], v[69:70], v[16:17]
	v_fma_f64 v[6:7], v[83:84], -0.5, v[6:7]
	v_mul_f64 v[83:84], v[61:62], -0.5
	v_fma_f64 v[42:43], v[73:74], s[2:3], v[0:1]
	v_fma_f64 v[0:1], v[73:74], s[0:1], v[0:1]
	v_and_b32_e32 v73, 0xffff, v89
	v_add_f64 v[20:21], v[30:31], v[20:21]
	v_fma_f64 v[30:31], v[8:9], s[0:1], v[4:5]
	v_fma_f64 v[4:5], v[8:9], s[2:3], v[4:5]
	v_add_f64 v[22:23], v[32:33], v[22:23]
	v_fma_f64 v[46:47], v[55:56], 0.5, v[53:54]
	v_fma_f64 v[53:54], v[44:45], s[2:3], v[2:3]
	v_fma_f64 v[2:3], v[44:45], s[0:1], v[2:3]
	v_fma_f64 v[44:45], v[57:58], 0.5, v[65:66]
	v_fma_f64 v[8:9], v[59:60], 0.5, v[34:35]
	v_fma_f64 v[51:52], v[51:52], s[2:3], v[85:86]
	v_fma_f64 v[55:56], v[61:62], s[2:3], v[87:88]
	;; [unrolled: 1-line block ×3, first 2 shown]
	v_add_f64 v[57:58], v[16:17], v[36:37]
	v_add_f64 v[16:17], v[16:17], -v[36:37]
	v_add_f64 v[36:37], v[18:19], v[40:41]
	v_add_f64 v[18:19], v[18:19], -v[40:41]
	v_fma_f64 v[34:35], v[10:11], s[0:1], v[6:7]
	v_fma_f64 v[6:7], v[10:11], s[2:3], v[6:7]
	v_fma_f64 v[10:11], v[67:68], 0.5, v[79:80]
	v_fma_f64 v[38:39], v[71:72], s[0:1], v[83:84]
	v_add_f64 v[61:62], v[22:23], v[14:15]
	v_add_f64 v[63:64], v[22:23], -v[14:15]
	v_add_f64 v[40:41], v[42:43], v[46:47]
	v_add_f64 v[42:43], v[42:43], -v[46:47]
	;; [unrolled: 2-line block ×3, first 2 shown]
	v_add_f64 v[53:54], v[20:21], v[12:13]
	v_add_f64 v[65:66], v[30:31], v[8:9]
	;; [unrolled: 1-line block ×3, first 2 shown]
	v_add_f64 v[0:1], v[0:1], -v[51:52]
	v_add_f64 v[51:52], v[2:3], v[55:56]
	v_add_f64 v[2:3], v[2:3], -v[55:56]
	v_add_f64 v[55:56], v[20:21], -v[12:13]
	v_add_f64 v[67:68], v[4:5], v[32:33]
	v_add_f64 v[30:31], v[30:31], -v[8:9]
	v_add_f64 v[32:33], v[4:5], -v[32:33]
	v_mul_u32_u24_e32 v4, 5, v50
	v_mul_u32_u24_e32 v5, 0x6c0, v73
	v_lshlrev_b32_e32 v8, 3, v95
	s_delay_alu instid0(VALU_DEP_3)
	v_lshlrev_b32_e32 v73, 4, v4
	v_add_f64 v[69:70], v[34:35], v[10:11]
	v_add_f64 v[71:72], v[6:7], v[38:39]
	v_add_f64 v[34:35], v[34:35], -v[10:11]
	v_add_f64 v[38:39], v[6:7], -v[38:39]
	v_lshlrev_b32_e32 v7, 3, v94
	v_mul_u32_u24_e32 v6, 0x6c0, v90
	s_delay_alu instid0(VALU_DEP_2) | instskip(NEXT) | instid1(VALU_DEP_2)
	v_add3_u32 v74, 0, v5, v7
	v_add3_u32 v75, 0, v6, v8
	ds_store_2addr_b64 v74, v[57:58], v[40:41] offset1:36
	ds_store_2addr_b64 v74, v[59:60], v[16:17] offset0:72 offset1:108
	ds_store_2addr_b64 v74, v[42:43], v[0:1] offset0:144 offset1:180
	ds_store_2addr_b64 v75, v[36:37], v[46:47] offset1:36
	ds_store_2addr_b64 v75, v[51:52], v[18:19] offset0:72 offset1:108
	ds_store_2addr_b64 v75, v[44:45], v[2:3] offset0:144 offset1:180
	s_waitcnt lgkmcnt(0)
	s_barrier
	buffer_gl0_inv
	ds_load_2addr_b64 v[0:3], v24 offset1:216
	ds_load_2addr_b64 v[4:7], v28 offset0:16 offset1:232
	ds_load_2addr_b64 v[8:11], v29 offset0:32 offset1:248
	;; [unrolled: 1-line block ×3, first 2 shown]
	ds_load_2addr_b64 v[16:19], v26 offset1:216
	ds_load_2addr_b64 v[20:23], v27 offset0:16 offset1:232
	s_waitcnt lgkmcnt(0)
	s_barrier
	buffer_gl0_inv
	ds_store_2addr_b64 v74, v[53:54], v[65:66] offset1:36
	ds_store_2addr_b64 v74, v[67:68], v[55:56] offset0:72 offset1:108
	ds_store_2addr_b64 v74, v[30:31], v[32:33] offset0:144 offset1:180
	ds_store_2addr_b64 v75, v[61:62], v[69:70] offset1:36
	ds_store_2addr_b64 v75, v[71:72], v[63:64] offset0:72 offset1:108
	ds_store_2addr_b64 v75, v[34:35], v[38:39] offset0:144 offset1:180
	s_waitcnt lgkmcnt(0)
	s_barrier
	buffer_gl0_inv
	s_clause 0x4
	global_load_b128 v[30:33], v73, s[4:5] offset:3392
	global_load_b128 v[34:37], v73, s[4:5] offset:3424
	;; [unrolled: 1-line block ×5, first 2 shown]
	ds_load_2addr_b64 v[55:58], v25 offset0:16 offset1:232
	ds_load_2addr_b64 v[59:62], v27 offset0:16 offset1:232
	;; [unrolled: 1-line block ×3, first 2 shown]
	s_waitcnt vmcnt(4)
	v_mul_f64 v[67:68], v[12:13], v[32:33]
	s_waitcnt vmcnt(3)
	v_mul_f64 v[69:70], v[20:21], v[36:37]
	s_waitcnt lgkmcnt(2)
	v_mul_f64 v[46:47], v[55:56], v[32:33]
	s_waitcnt lgkmcnt(1)
	v_mul_f64 v[71:72], v[59:60], v[36:37]
	v_mul_f64 v[73:74], v[57:58], v[32:33]
	;; [unrolled: 1-line block ×5, first 2 shown]
	s_waitcnt vmcnt(2) lgkmcnt(0)
	v_mul_f64 v[77:78], v[63:64], v[40:41]
	v_mul_f64 v[79:80], v[4:5], v[40:41]
	;; [unrolled: 1-line block ×4, first 2 shown]
	v_fma_f64 v[55:56], v[55:56], v[30:31], v[67:68]
	v_fma_f64 v[59:60], v[59:60], v[34:35], v[69:70]
	v_fma_f64 v[46:47], v[12:13], v[30:31], -v[46:47]
	v_fma_f64 v[67:68], v[20:21], v[34:35], -v[71:72]
	;; [unrolled: 1-line block ×3, first 2 shown]
	v_fma_f64 v[30:31], v[57:58], v[30:31], v[32:33]
	v_fma_f64 v[32:33], v[61:62], v[34:35], v[75:76]
	v_fma_f64 v[34:35], v[22:23], v[34:35], -v[36:37]
	ds_load_2addr_b64 v[12:15], v29 offset0:32 offset1:248
	ds_load_2addr_b64 v[20:23], v26 offset1:216
	v_fma_f64 v[73:74], v[4:5], v[38:39], -v[77:78]
	v_fma_f64 v[63:64], v[63:64], v[38:39], v[79:80]
	v_fma_f64 v[77:78], v[6:7], v[38:39], -v[81:82]
	v_fma_f64 v[38:39], v[65:66], v[38:39], v[40:41]
	s_waitcnt vmcnt(1)
	v_mul_f64 v[65:66], v[8:9], v[44:45]
	s_waitcnt vmcnt(0)
	v_mul_f64 v[79:80], v[16:17], v[53:54]
	s_waitcnt lgkmcnt(1)
	v_mul_f64 v[36:37], v[12:13], v[44:45]
	s_waitcnt lgkmcnt(0)
	v_mul_f64 v[57:58], v[20:21], v[53:54]
	v_mul_f64 v[61:62], v[14:15], v[44:45]
	;; [unrolled: 1-line block ×5, first 2 shown]
	v_add_f64 v[4:5], v[55:56], v[59:60]
	v_add_f64 v[75:76], v[46:47], v[67:68]
	v_add_f64 v[6:7], v[30:31], v[32:33]
	v_add_f64 v[40:41], v[69:70], v[34:35]
	v_add_f64 v[81:82], v[69:70], -v[34:35]
	v_add_f64 v[69:70], v[77:78], v[69:70]
	v_fma_f64 v[12:13], v[12:13], v[42:43], v[65:66]
	v_fma_f64 v[20:21], v[20:21], v[51:52], v[79:80]
	v_fma_f64 v[8:9], v[8:9], v[42:43], -v[36:37]
	v_fma_f64 v[16:17], v[16:17], v[51:52], -v[57:58]
	v_fma_f64 v[10:11], v[10:11], v[42:43], -v[61:62]
	v_add_f64 v[57:58], v[46:47], -v[67:68]
	v_fma_f64 v[18:19], v[18:19], v[51:52], -v[71:72]
	v_add_f64 v[36:37], v[55:56], -v[59:60]
	v_fma_f64 v[14:15], v[14:15], v[42:43], v[44:45]
	v_fma_f64 v[22:23], v[22:23], v[51:52], v[53:54]
	v_add_f64 v[46:47], v[73:74], v[46:47]
	v_add_f64 v[55:56], v[63:64], v[55:56]
	v_fma_f64 v[61:62], v[4:5], -0.5, v[63:64]
	v_fma_f64 v[71:72], v[75:76], -0.5, v[73:74]
	v_add_f64 v[75:76], v[30:31], -v[32:33]
	v_add_f64 v[30:31], v[38:39], v[30:31]
	v_fma_f64 v[83:84], v[6:7], -0.5, v[38:39]
	v_fma_f64 v[40:41], v[40:41], -0.5, v[77:78]
	ds_load_2addr_b64 v[4:7], v24 offset1:216
	s_waitcnt lgkmcnt(0)
	s_barrier
	v_add_f64 v[34:35], v[69:70], v[34:35]
	buffer_gl0_inv
	v_add_f64 v[85:86], v[12:13], v[20:21]
	v_add_f64 v[87:88], v[0:1], v[8:9]
	;; [unrolled: 1-line block ×4, first 2 shown]
	v_add_f64 v[8:9], v[8:9], -v[16:17]
	v_add_f64 v[53:54], v[10:11], v[18:19]
	v_add_f64 v[10:11], v[10:11], -v[18:19]
	v_add_f64 v[46:47], v[46:47], v[67:68]
	v_fma_f64 v[44:45], v[57:58], s[0:1], v[61:62]
	v_fma_f64 v[57:58], v[57:58], s[2:3], v[61:62]
	v_fma_f64 v[51:52], v[36:37], s[0:1], v[71:72]
	v_fma_f64 v[36:37], v[36:37], s[2:3], v[71:72]
	v_add_f64 v[61:62], v[14:15], v[22:23]
	v_fma_f64 v[65:66], v[81:82], s[0:1], v[83:84]
	v_fma_f64 v[79:80], v[75:76], s[0:1], v[40:41]
	;; [unrolled: 1-line block ×4, first 2 shown]
	v_add_f64 v[71:72], v[12:13], -v[20:21]
	v_add_f64 v[12:13], v[4:5], v[12:13]
	v_fma_f64 v[4:5], v[85:86], -0.5, v[4:5]
	v_add_f64 v[16:17], v[87:88], v[16:17]
	v_fma_f64 v[0:1], v[42:43], -0.5, v[0:1]
	v_add_f64 v[42:43], v[14:15], -v[22:23]
	v_add_f64 v[14:15], v[6:7], v[14:15]
	v_fma_f64 v[2:3], v[53:54], -0.5, v[2:3]
	v_add_f64 v[18:19], v[73:74], v[18:19]
	v_mul_f64 v[77:78], v[44:45], s[2:3]
	v_mul_f64 v[63:64], v[57:58], -0.5
	v_mul_f64 v[81:82], v[51:52], -0.5
	v_mul_f64 v[38:39], v[36:37], s[0:1]
	v_fma_f64 v[6:7], v[61:62], -0.5, v[6:7]
	v_mul_f64 v[53:54], v[65:66], s[2:3]
	v_mul_f64 v[83:84], v[79:80], -0.5
	v_mul_f64 v[61:62], v[40:41], s[0:1]
	v_mul_f64 v[85:86], v[75:76], -0.5
	v_add_f64 v[12:13], v[12:13], v[20:21]
	v_add_f64 v[20:21], v[55:56], v[59:60]
	v_fma_f64 v[67:68], v[71:72], s[2:3], v[0:1]
	v_fma_f64 v[0:1], v[71:72], s[0:1], v[0:1]
	v_add_f64 v[14:15], v[14:15], v[22:23]
	v_fma_f64 v[69:70], v[42:43], s[2:3], v[2:3]
	v_fma_f64 v[2:3], v[42:43], s[0:1], v[2:3]
	;; [unrolled: 3-line block ×3, first 2 shown]
	v_fma_f64 v[36:37], v[36:37], 0.5, v[77:78]
	v_fma_f64 v[32:33], v[51:52], s[0:1], v[63:64]
	v_fma_f64 v[57:58], v[57:58], s[2:3], v[81:82]
	v_fma_f64 v[8:9], v[44:45], 0.5, v[38:39]
	v_fma_f64 v[38:39], v[10:11], s[0:1], v[6:7]
	v_fma_f64 v[40:41], v[40:41], 0.5, v[53:54]
	v_fma_f64 v[42:43], v[75:76], s[2:3], v[83:84]
	v_fma_f64 v[6:7], v[10:11], s[2:3], v[6:7]
	v_fma_f64 v[10:11], v[65:66], 0.5, v[61:62]
	v_fma_f64 v[44:45], v[79:80], s[0:1], v[85:86]
	v_add_f64 v[51:52], v[16:17], v[46:47]
	v_add_f64 v[16:17], v[16:17], -v[46:47]
	v_add_f64 v[46:47], v[18:19], v[34:35]
	v_add_f64 v[18:19], v[18:19], -v[34:35]
	v_add_f64 v[59:60], v[12:13], -v[20:21]
	v_add_f64 v[61:62], v[14:15], v[22:23]
	v_add_f64 v[63:64], v[14:15], -v[22:23]
	v_add_f64 v[34:35], v[67:68], v[36:37]
	v_add_f64 v[36:37], v[67:68], -v[36:37]
	v_add_f64 v[53:54], v[0:1], v[57:58]
	v_add_f64 v[0:1], v[0:1], -v[57:58]
	v_add_f64 v[65:66], v[30:31], v[8:9]
	v_add_f64 v[55:56], v[69:70], v[40:41]
	v_add_f64 v[57:58], v[2:3], v[42:43]
	v_add_f64 v[40:41], v[69:70], -v[40:41]
	v_add_f64 v[2:3], v[2:3], -v[42:43]
	v_add_f64 v[42:43], v[12:13], v[20:21]
	v_add_f64 v[67:68], v[4:5], v[32:33]
	v_add_f64 v[69:70], v[30:31], -v[8:9]
	v_add_f64 v[31:32], v[4:5], -v[32:33]
	;; [unrolled: 4-line block ×3, first 2 shown]
	v_lshl_add_u32 v30, v50, 3, 0
	ds_store_2addr_b64 v24, v[51:52], v[34:35] offset1:216
	ds_store_2addr_b64 v28, v[53:54], v[16:17] offset0:16 offset1:232
	ds_store_2addr_b64 v29, v[36:37], v[0:1] offset0:32 offset1:248
	;; [unrolled: 1-line block ×3, first 2 shown]
	ds_store_2addr_b64 v26, v[57:58], v[18:19] offset1:216
	ds_store_2addr_b64 v27, v[40:41], v[2:3] offset0:16 offset1:232
	s_waitcnt lgkmcnt(0)
	s_barrier
	buffer_gl0_inv
	ds_load_2addr_b64 v[0:3], v24 offset1:216
	ds_load_2addr_b64 v[8:11], v25 offset0:16 offset1:232
	ds_load_b64 v[16:17], v24 offset:3456
	ds_load_2addr_b64 v[4:7], v26 offset1:216
	ds_load_b64 v[22:23], v30 offset:8640
	ds_load_b64 v[18:19], v30 offset:5184
	;; [unrolled: 1-line block ×3, first 2 shown]
	ds_load_2addr_b64 v[12:15], v27 offset0:16 offset1:232
	s_waitcnt lgkmcnt(0)
	s_barrier
	buffer_gl0_inv
	ds_store_2addr_b64 v24, v[42:43], v[65:66] offset1:216
	ds_store_2addr_b64 v28, v[67:68], v[59:60] offset0:16 offset1:232
	ds_store_2addr_b64 v29, v[69:70], v[31:32] offset0:32 offset1:248
	;; [unrolled: 1-line block ×3, first 2 shown]
	ds_store_2addr_b64 v26, v[73:74], v[63:64] offset1:216
	ds_store_2addr_b64 v27, v[38:39], v[44:45] offset0:16 offset1:232
	s_waitcnt lgkmcnt(0)
	s_barrier
	buffer_gl0_inv
	s_and_saveexec_b32 s0, vcc_lo
	s_cbranch_execz .LBB0_13
; %bb.12:
	v_dual_mov_b32 v67, 0 :: v_dual_add_nc_u32 v66, 0x438, v50
	v_add_nc_u32_e32 v28, 0x1b0, v50
	v_add_nc_u32_e32 v68, 0x360, v50
	s_delay_alu instid0(VALU_DEP_3) | instskip(NEXT) | instid1(VALU_DEP_4)
	v_dual_mov_b32 v36, v67 :: v_dual_add_nc_u32 v35, 0x288, v50
	v_lshlrev_b64 v[31:32], 4, v[66:67]
	v_mov_b32_e32 v69, v67
	v_mov_b32_e32 v51, v67
	s_delay_alu instid0(VALU_DEP_4) | instskip(NEXT) | instid1(VALU_DEP_4)
	v_lshlrev_b64 v[35:36], 4, v[35:36]
	v_add_co_u32 v29, vcc_lo, s4, v31
	v_add_co_ci_u32_e32 v34, vcc_lo, s5, v32, vcc_lo
	v_lshlrev_b64 v[31:32], 4, v[68:69]
	s_delay_alu instid0(VALU_DEP_3) | instskip(NEXT) | instid1(VALU_DEP_3)
	v_add_co_u32 v33, vcc_lo, 0x5000, v29
	v_add_co_ci_u32_e32 v34, vcc_lo, 0, v34, vcc_lo
	v_lshlrev_b64 v[69:70], 4, v[50:51]
	s_delay_alu instid0(VALU_DEP_4)
	v_add_co_u32 v29, vcc_lo, s4, v31
	v_add_co_ci_u32_e32 v38, vcc_lo, s5, v32, vcc_lo
	global_load_b128 v[31:34], v[33:34], off offset:160
	v_add_co_u32 v37, vcc_lo, 0x5000, v29
	v_mov_b32_e32 v29, v67
	v_add_co_ci_u32_e32 v38, vcc_lo, 0, v38, vcc_lo
	v_add_co_u32 v35, vcc_lo, s4, v35
	v_add_co_ci_u32_e32 v36, vcc_lo, s5, v36, vcc_lo
	s_delay_alu instid0(VALU_DEP_4) | instskip(NEXT) | instid1(VALU_DEP_3)
	v_lshlrev_b64 v[28:29], 4, v[28:29]
	v_add_co_u32 v39, vcc_lo, 0x5000, v35
	s_delay_alu instid0(VALU_DEP_3) | instskip(NEXT) | instid1(VALU_DEP_3)
	v_add_co_ci_u32_e32 v40, vcc_lo, 0, v36, vcc_lo
	v_add_co_u32 v28, vcc_lo, s4, v28
	s_delay_alu instid0(VALU_DEP_4) | instskip(SKIP_2) | instid1(VALU_DEP_4)
	v_add_co_ci_u32_e32 v29, vcc_lo, s5, v29, vcc_lo
	v_add_co_u32 v35, vcc_lo, s4, v69
	v_add_co_ci_u32_e32 v36, vcc_lo, s5, v70, vcc_lo
	v_add_co_u32 v28, vcc_lo, 0x5000, v28
	s_delay_alu instid0(VALU_DEP_4) | instskip(NEXT) | instid1(VALU_DEP_4)
	v_add_co_ci_u32_e32 v29, vcc_lo, 0, v29, vcc_lo
	v_add_co_u32 v54, vcc_lo, 0x5000, v35
	s_delay_alu instid0(VALU_DEP_4)
	v_add_co_ci_u32_e32 v55, vcc_lo, 0, v36, vcc_lo
	s_clause 0x4
	global_load_b128 v[35:38], v[37:38], off offset:160
	global_load_b128 v[39:42], v[39:40], off offset:160
	;; [unrolled: 1-line block ×5, first 2 shown]
	ds_load_2addr_b64 v[58:61], v27 offset0:16 offset1:232
	ds_load_2addr_b64 v[26:29], v26 offset1:216
	ds_load_2addr_b64 v[62:65], v25 offset0:16 offset1:232
	s_waitcnt vmcnt(5)
	v_mul_f64 v[71:72], v[14:15], v[33:34]
	s_waitcnt lgkmcnt(2)
	v_mul_f64 v[33:34], v[60:61], v[33:34]
	s_waitcnt vmcnt(4)
	v_mul_f64 v[73:74], v[12:13], v[37:38]
	s_waitcnt vmcnt(3)
	;; [unrolled: 2-line block ×5, first 2 shown]
	v_mul_f64 v[81:82], v[8:9], v[56:57]
	s_waitcnt lgkmcnt(0)
	v_mul_f64 v[56:57], v[62:63], v[56:57]
	v_mul_f64 v[52:53], v[64:65], v[52:53]
	;; [unrolled: 1-line block ×4, first 2 shown]
	v_fma_f64 v[60:61], v[60:61], v[31:32], v[71:72]
	v_fma_f64 v[14:15], v[14:15], v[31:32], -v[33:34]
	v_mul_f64 v[31:32], v[58:59], v[37:38]
	v_add_co_u32 v71, vcc_lo, s8, v48
	v_add_co_ci_u32_e32 v72, vcc_lo, s9, v49, vcc_lo
	v_fma_f64 v[33:34], v[58:59], v[35:36], v[73:74]
	v_fma_f64 v[25:26], v[26:27], v[43:44], v[77:78]
	;; [unrolled: 1-line block ×4, first 2 shown]
	v_fma_f64 v[54:55], v[8:9], v[54:55], -v[56:57]
	v_fma_f64 v[50:51], v[10:11], v[50:51], -v[52:53]
	;; [unrolled: 1-line block ×3, first 2 shown]
	v_fma_f64 v[45:46], v[28:29], v[39:40], v[75:76]
	v_fma_f64 v[40:41], v[6:7], v[39:40], -v[41:42]
	ds_load_b64 v[52:53], v30 offset:8640
	ds_load_b64 v[56:57], v30 offset:5184
	;; [unrolled: 1-line block ×4, first 2 shown]
	ds_load_2addr_b64 v[4:7], v24 offset1:216
	v_add_f64 v[8:9], v[22:23], -v[14:15]
	v_fma_f64 v[12:13], v[12:13], v[35:36], -v[31:32]
	s_waitcnt lgkmcnt(4)
	v_add_f64 v[10:11], v[52:53], -v[60:61]
	s_waitcnt lgkmcnt(2)
	v_add_f64 v[14:15], v[62:63], -v[33:34]
	;; [unrolled: 2-line block ×4, first 2 shown]
	v_add_f64 v[34:35], v[4:5], -v[58:59]
	v_add_f64 v[32:33], v[0:1], -v[54:55]
	;; [unrolled: 1-line block ×6, first 2 shown]
	v_mul_hi_u32 v40, 0xca4587e7, v68
	v_mul_hi_u32 v41, 0xca4587e7, v66
	v_add_f64 v[12:13], v[20:21], -v[12:13]
	v_add_co_u32 v58, vcc_lo, v71, v69
	v_add_co_ci_u32_e32 v59, vcc_lo, v72, v70, vcc_lo
	v_mov_b32_e32 v55, v67
	v_lshrrev_b32_e32 v40, 10, v40
	v_lshrrev_b32_e32 v41, 10, v41
	v_add_co_u32 v60, vcc_lo, 0x5000, v58
	v_add_co_ci_u32_e32 v61, vcc_lo, 0, v59, vcc_lo
	s_delay_alu instid0(VALU_DEP_4) | instskip(NEXT) | instid1(VALU_DEP_4)
	v_mad_u32_u24 v54, 0x510, v40, v68
	v_mad_u32_u24 v66, 0x510, v41, v66
	v_fma_f64 v[40:41], v[22:23], 2.0, -v[8:9]
	v_fma_f64 v[42:43], v[52:53], 2.0, -v[10:11]
	v_add_co_u32 v68, vcc_lo, 0x1000, v58
	v_add_co_ci_u32_e32 v69, vcc_lo, 0, v59, vcc_lo
	v_lshlrev_b64 v[52:53], 4, v[54:55]
	v_fma_f64 v[22:23], v[62:63], 2.0, -v[14:15]
	v_fma_f64 v[46:47], v[64:65], 2.0, -v[26:27]
	;; [unrolled: 1-line block ×9, first 2 shown]
	v_add_co_u32 v16, vcc_lo, 0x6000, v58
	v_fma_f64 v[20:21], v[20:21], 2.0, -v[12:13]
	v_add_co_ci_u32_e32 v17, vcc_lo, 0, v59, vcc_lo
	v_add_co_u32 v18, vcc_lo, 0x2000, v58
	v_add_co_ci_u32_e32 v19, vcc_lo, 0, v59, vcc_lo
	v_add_co_u32 v54, vcc_lo, 0x7000, v58
	v_lshlrev_b64 v[56:57], 4, v[66:67]
	v_add_co_ci_u32_e32 v55, vcc_lo, 0, v59, vcc_lo
	v_add_co_u32 v52, vcc_lo, v71, v52
	v_add_co_ci_u32_e32 v53, vcc_lo, v72, v53, vcc_lo
	s_delay_alu instid0(VALU_DEP_4) | instskip(SKIP_1) | instid1(VALU_DEP_4)
	v_add_co_u32 v56, vcc_lo, v71, v56
	v_add_co_ci_u32_e32 v57, vcc_lo, v72, v57, vcc_lo
	v_add_co_u32 v62, vcc_lo, 0x5000, v52
	s_delay_alu instid0(VALU_DEP_4) | instskip(NEXT) | instid1(VALU_DEP_4)
	v_add_co_ci_u32_e32 v63, vcc_lo, 0, v53, vcc_lo
	v_add_co_u32 v64, vcc_lo, 0x5000, v56
	s_delay_alu instid0(VALU_DEP_4)
	v_add_co_ci_u32_e32 v65, vcc_lo, 0, v57, vcc_lo
	s_clause 0xb
	global_store_b128 v[60:61], v[32:35], off offset:256
	global_store_b128 v[60:61], v[28:31], off offset:3712
	global_store_b128 v[58:59], v[48:51], off
	global_store_b128 v[58:59], v[4:7], off offset:3456
	global_store_b128 v[68:69], v[44:47], off offset:2816
	;; [unrolled: 1-line block ×5, first 2 shown]
	global_store_b128 v[52:53], v[20:23], off
	global_store_b128 v[62:63], v[12:15], off offset:256
	global_store_b128 v[56:57], v[40:43], off
	global_store_b128 v[64:65], v[8:11], off offset:256
.LBB0_13:
	s_nop 0
	s_sendmsg sendmsg(MSG_DEALLOC_VGPRS)
	s_endpgm
	.section	.rodata,"a",@progbits
	.p2align	6, 0x0
	.amdhsa_kernel fft_rtc_fwd_len2592_factors_6_6_6_6_2_wgs_216_tpt_216_halfLds_dp_ip_CI_unitstride_sbrr_dirReg
		.amdhsa_group_segment_fixed_size 0
		.amdhsa_private_segment_fixed_size 0
		.amdhsa_kernarg_size 88
		.amdhsa_user_sgpr_count 15
		.amdhsa_user_sgpr_dispatch_ptr 0
		.amdhsa_user_sgpr_queue_ptr 0
		.amdhsa_user_sgpr_kernarg_segment_ptr 1
		.amdhsa_user_sgpr_dispatch_id 0
		.amdhsa_user_sgpr_private_segment_size 0
		.amdhsa_wavefront_size32 1
		.amdhsa_uses_dynamic_stack 0
		.amdhsa_enable_private_segment 0
		.amdhsa_system_sgpr_workgroup_id_x 1
		.amdhsa_system_sgpr_workgroup_id_y 0
		.amdhsa_system_sgpr_workgroup_id_z 0
		.amdhsa_system_sgpr_workgroup_info 0
		.amdhsa_system_vgpr_workitem_id 0
		.amdhsa_next_free_vgpr 96
		.amdhsa_next_free_sgpr 21
		.amdhsa_reserve_vcc 1
		.amdhsa_float_round_mode_32 0
		.amdhsa_float_round_mode_16_64 0
		.amdhsa_float_denorm_mode_32 3
		.amdhsa_float_denorm_mode_16_64 3
		.amdhsa_dx10_clamp 1
		.amdhsa_ieee_mode 1
		.amdhsa_fp16_overflow 0
		.amdhsa_workgroup_processor_mode 1
		.amdhsa_memory_ordered 1
		.amdhsa_forward_progress 0
		.amdhsa_shared_vgpr_count 0
		.amdhsa_exception_fp_ieee_invalid_op 0
		.amdhsa_exception_fp_denorm_src 0
		.amdhsa_exception_fp_ieee_div_zero 0
		.amdhsa_exception_fp_ieee_overflow 0
		.amdhsa_exception_fp_ieee_underflow 0
		.amdhsa_exception_fp_ieee_inexact 0
		.amdhsa_exception_int_div_zero 0
	.end_amdhsa_kernel
	.text
.Lfunc_end0:
	.size	fft_rtc_fwd_len2592_factors_6_6_6_6_2_wgs_216_tpt_216_halfLds_dp_ip_CI_unitstride_sbrr_dirReg, .Lfunc_end0-fft_rtc_fwd_len2592_factors_6_6_6_6_2_wgs_216_tpt_216_halfLds_dp_ip_CI_unitstride_sbrr_dirReg
                                        ; -- End function
	.section	.AMDGPU.csdata,"",@progbits
; Kernel info:
; codeLenInByte = 8712
; NumSgprs: 23
; NumVgprs: 96
; ScratchSize: 0
; MemoryBound: 1
; FloatMode: 240
; IeeeMode: 1
; LDSByteSize: 0 bytes/workgroup (compile time only)
; SGPRBlocks: 2
; VGPRBlocks: 11
; NumSGPRsForWavesPerEU: 23
; NumVGPRsForWavesPerEU: 96
; Occupancy: 16
; WaveLimiterHint : 1
; COMPUTE_PGM_RSRC2:SCRATCH_EN: 0
; COMPUTE_PGM_RSRC2:USER_SGPR: 15
; COMPUTE_PGM_RSRC2:TRAP_HANDLER: 0
; COMPUTE_PGM_RSRC2:TGID_X_EN: 1
; COMPUTE_PGM_RSRC2:TGID_Y_EN: 0
; COMPUTE_PGM_RSRC2:TGID_Z_EN: 0
; COMPUTE_PGM_RSRC2:TIDIG_COMP_CNT: 0
	.text
	.p2alignl 7, 3214868480
	.fill 96, 4, 3214868480
	.type	__hip_cuid_23284f4c1cd818ad,@object ; @__hip_cuid_23284f4c1cd818ad
	.section	.bss,"aw",@nobits
	.globl	__hip_cuid_23284f4c1cd818ad
__hip_cuid_23284f4c1cd818ad:
	.byte	0                               ; 0x0
	.size	__hip_cuid_23284f4c1cd818ad, 1

	.ident	"AMD clang version 19.0.0git (https://github.com/RadeonOpenCompute/llvm-project roc-6.4.0 25133 c7fe45cf4b819c5991fe208aaa96edf142730f1d)"
	.section	".note.GNU-stack","",@progbits
	.addrsig
	.addrsig_sym __hip_cuid_23284f4c1cd818ad
	.amdgpu_metadata
---
amdhsa.kernels:
  - .args:
      - .actual_access:  read_only
        .address_space:  global
        .offset:         0
        .size:           8
        .value_kind:     global_buffer
      - .offset:         8
        .size:           8
        .value_kind:     by_value
      - .actual_access:  read_only
        .address_space:  global
        .offset:         16
        .size:           8
        .value_kind:     global_buffer
      - .actual_access:  read_only
        .address_space:  global
        .offset:         24
        .size:           8
        .value_kind:     global_buffer
      - .offset:         32
        .size:           8
        .value_kind:     by_value
      - .actual_access:  read_only
        .address_space:  global
        .offset:         40
        .size:           8
        .value_kind:     global_buffer
      - .actual_access:  read_only
        .address_space:  global
        .offset:         48
        .size:           8
        .value_kind:     global_buffer
      - .offset:         56
        .size:           4
        .value_kind:     by_value
      - .actual_access:  read_only
        .address_space:  global
        .offset:         64
        .size:           8
        .value_kind:     global_buffer
      - .actual_access:  read_only
        .address_space:  global
        .offset:         72
        .size:           8
        .value_kind:     global_buffer
      - .address_space:  global
        .offset:         80
        .size:           8
        .value_kind:     global_buffer
    .group_segment_fixed_size: 0
    .kernarg_segment_align: 8
    .kernarg_segment_size: 88
    .language:       OpenCL C
    .language_version:
      - 2
      - 0
    .max_flat_workgroup_size: 216
    .name:           fft_rtc_fwd_len2592_factors_6_6_6_6_2_wgs_216_tpt_216_halfLds_dp_ip_CI_unitstride_sbrr_dirReg
    .private_segment_fixed_size: 0
    .sgpr_count:     23
    .sgpr_spill_count: 0
    .symbol:         fft_rtc_fwd_len2592_factors_6_6_6_6_2_wgs_216_tpt_216_halfLds_dp_ip_CI_unitstride_sbrr_dirReg.kd
    .uniform_work_group_size: 1
    .uses_dynamic_stack: false
    .vgpr_count:     96
    .vgpr_spill_count: 0
    .wavefront_size: 32
    .workgroup_processor_mode: 1
amdhsa.target:   amdgcn-amd-amdhsa--gfx1100
amdhsa.version:
  - 1
  - 2
...

	.end_amdgpu_metadata
